;; amdgpu-corpus repo=zjin-lcf/HeCBench kind=compiled arch=gfx906 opt=O3
	.amdgcn_target "amdgcn-amd-amdhsa--gfx906"
	.amdhsa_code_object_version 6
	.text
	.protected	_Z15SumWithinBlocksiPKfPf ; -- Begin function _Z15SumWithinBlocksiPKfPf
	.globl	_Z15SumWithinBlocksiPKfPf
	.p2align	8
	.type	_Z15SumWithinBlocksiPKfPf,@function
_Z15SumWithinBlocksiPKfPf:              ; @_Z15SumWithinBlocksiPKfPf
; %bb.0:
	s_load_dword s7, s[4:5], 0x24
	s_load_dword s12, s[4:5], 0x0
	s_load_dwordx4 s[0:3], s[4:5], 0x8
	s_add_u32 s8, s4, 24
	s_addc_u32 s9, s5, 0
	s_waitcnt lgkmcnt(0)
	s_and_b32 s7, s7, 0xffff
	s_mul_i32 s4, s6, s7
	v_add_u32_e32 v1, s4, v0
	v_cmp_gt_i32_e32 vcc, s12, v1
	v_mov_b32_e32 v4, 0
	s_and_saveexec_b64 s[4:5], vcc
	s_cbranch_execz .LBB0_4
; %bb.1:
	s_load_dword s8, s[8:9], 0x0
	v_ashrrev_i32_e32 v2, 31, v1
	v_lshlrev_b64 v[2:3], 2, v[1:2]
	v_mov_b32_e32 v4, s1
	v_add_co_u32_e32 v2, vcc, s0, v2
	s_waitcnt lgkmcnt(0)
	s_mul_i32 s8, s8, s7
	s_ashr_i32 s9, s8, 31
	s_lshl_b64 s[0:1], s[8:9], 2
	v_addc_co_u32_e32 v3, vcc, v4, v3, vcc
	v_mov_b32_e32 v4, 0
	s_mov_b64 s[10:11], 0
	v_mov_b32_e32 v5, s1
.LBB0_2:                                ; =>This Inner Loop Header: Depth=1
	global_load_dword v6, v[2:3], off
	v_add_co_u32_e32 v2, vcc, s0, v2
	v_add_u32_e32 v1, s8, v1
	v_addc_co_u32_e32 v3, vcc, v3, v5, vcc
	v_cmp_le_i32_e32 vcc, s12, v1
	s_or_b64 s[10:11], vcc, s[10:11]
	s_waitcnt vmcnt(0)
	v_add_f32_e32 v4, v4, v6
	s_andn2_b64 exec, exec, s[10:11]
	s_cbranch_execnz .LBB0_2
; %bb.3:
	s_or_b64 exec, exec, s[10:11]
.LBB0_4:
	s_or_b64 exec, exec, s[4:5]
	s_movk_i32 s0, 0x80
	v_or_b32_e32 v2, 0x80, v0
	v_cmp_gt_u32_e32 vcc, s0, v0
	v_cmp_gt_u32_e64 s[0:1], s7, v2
	v_lshlrev_b32_e32 v1, 2, v0
	s_and_b64 s[4:5], vcc, s[0:1]
	ds_write_b32 v1, v4
	s_waitcnt lgkmcnt(0)
	s_barrier
	s_and_saveexec_b64 s[0:1], s[4:5]
	s_cbranch_execz .LBB0_6
; %bb.5:
	ds_read2st64_b32 v[2:3], v1 offset1:2
	s_waitcnt lgkmcnt(0)
	v_add_f32_e32 v2, v3, v2
	ds_write_b32 v1, v2
.LBB0_6:
	s_or_b64 exec, exec, s[0:1]
	v_or_b32_e32 v2, 64, v0
	v_cmp_gt_u32_e32 vcc, 64, v0
	v_cmp_gt_u32_e64 s[0:1], s7, v2
	s_and_b64 s[4:5], vcc, s[0:1]
	s_waitcnt lgkmcnt(0)
	s_barrier
	s_and_saveexec_b64 s[0:1], s[4:5]
	s_cbranch_execz .LBB0_8
; %bb.7:
	ds_read2st64_b32 v[2:3], v1 offset1:1
	s_waitcnt lgkmcnt(0)
	v_add_f32_e32 v2, v3, v2
	ds_write_b32 v1, v2
.LBB0_8:
	s_or_b64 exec, exec, s[0:1]
	v_or_b32_e32 v2, 32, v0
	v_cmp_gt_u32_e32 vcc, 32, v0
	v_cmp_gt_u32_e64 s[0:1], s7, v2
	s_and_b64 s[4:5], vcc, s[0:1]
	s_waitcnt lgkmcnt(0)
	s_barrier
	s_and_saveexec_b64 s[0:1], s[4:5]
	s_cbranch_execz .LBB0_10
; %bb.9:
	ds_read2_b32 v[2:3], v1 offset1:32
	s_waitcnt lgkmcnt(0)
	v_add_f32_e32 v2, v3, v2
	ds_write_b32 v1, v2
.LBB0_10:
	s_or_b64 exec, exec, s[0:1]
	v_or_b32_e32 v2, 16, v0
	v_cmp_gt_u32_e32 vcc, 16, v0
	v_cmp_gt_u32_e64 s[0:1], s7, v2
	s_and_b64 s[4:5], vcc, s[0:1]
	s_waitcnt lgkmcnt(0)
	s_barrier
	s_and_saveexec_b64 s[0:1], s[4:5]
	s_cbranch_execz .LBB0_12
; %bb.11:
	ds_read2_b32 v[2:3], v1 offset1:16
	s_waitcnt lgkmcnt(0)
	v_add_f32_e32 v2, v3, v2
	ds_write_b32 v1, v2
.LBB0_12:
	;; [unrolled: 15-line block ×5, first 2 shown]
	s_or_b64 exec, exec, s[0:1]
	s_cmp_gt_u32 s7, 1
	v_cmp_eq_u32_e32 vcc, 0, v0
	s_cselect_b64 s[0:1], -1, 0
	s_and_b64 s[4:5], vcc, s[0:1]
	s_waitcnt lgkmcnt(0)
	s_barrier
	s_and_saveexec_b64 s[0:1], s[4:5]
	s_cbranch_execz .LBB0_20
; %bb.19:
	v_mov_b32_e32 v0, 0
	ds_read_b32 v0, v0 offset:4
	ds_read_b32 v2, v1
	s_waitcnt lgkmcnt(0)
	v_add_f32_e32 v0, v0, v2
	ds_write_b32 v1, v0
.LBB0_20:
	s_or_b64 exec, exec, s[0:1]
	s_waitcnt lgkmcnt(0)
	s_barrier
	s_and_saveexec_b64 s[0:1], vcc
	s_cbranch_execz .LBB0_22
; %bb.21:
	v_mov_b32_e32 v0, 0
	ds_read_b32 v1, v0
	s_mov_b32 s7, 0
	s_lshl_b64 s[0:1], s[6:7], 2
	s_add_u32 s0, s2, s0
	s_addc_u32 s1, s3, s1
	s_waitcnt lgkmcnt(0)
	global_store_dword v0, v1, s[0:1]
.LBB0_22:
	s_endpgm
	.section	.rodata,"a",@progbits
	.p2align	6, 0x0
	.amdhsa_kernel _Z15SumWithinBlocksiPKfPf
		.amdhsa_group_segment_fixed_size 2048
		.amdhsa_private_segment_fixed_size 0
		.amdhsa_kernarg_size 280
		.amdhsa_user_sgpr_count 6
		.amdhsa_user_sgpr_private_segment_buffer 1
		.amdhsa_user_sgpr_dispatch_ptr 0
		.amdhsa_user_sgpr_queue_ptr 0
		.amdhsa_user_sgpr_kernarg_segment_ptr 1
		.amdhsa_user_sgpr_dispatch_id 0
		.amdhsa_user_sgpr_flat_scratch_init 0
		.amdhsa_user_sgpr_private_segment_size 0
		.amdhsa_uses_dynamic_stack 0
		.amdhsa_system_sgpr_private_segment_wavefront_offset 0
		.amdhsa_system_sgpr_workgroup_id_x 1
		.amdhsa_system_sgpr_workgroup_id_y 0
		.amdhsa_system_sgpr_workgroup_id_z 0
		.amdhsa_system_sgpr_workgroup_info 0
		.amdhsa_system_vgpr_workitem_id 0
		.amdhsa_next_free_vgpr 29
		.amdhsa_next_free_sgpr 61
		.amdhsa_reserve_vcc 1
		.amdhsa_reserve_flat_scratch 0
		.amdhsa_float_round_mode_32 0
		.amdhsa_float_round_mode_16_64 0
		.amdhsa_float_denorm_mode_32 3
		.amdhsa_float_denorm_mode_16_64 3
		.amdhsa_dx10_clamp 1
		.amdhsa_ieee_mode 1
		.amdhsa_fp16_overflow 0
		.amdhsa_exception_fp_ieee_invalid_op 0
		.amdhsa_exception_fp_denorm_src 0
		.amdhsa_exception_fp_ieee_div_zero 0
		.amdhsa_exception_fp_ieee_overflow 0
		.amdhsa_exception_fp_ieee_underflow 0
		.amdhsa_exception_fp_ieee_inexact 0
		.amdhsa_exception_int_div_zero 0
	.end_amdhsa_kernel
	.text
.Lfunc_end0:
	.size	_Z15SumWithinBlocksiPKfPf, .Lfunc_end0-_Z15SumWithinBlocksiPKfPf
                                        ; -- End function
	.set _Z15SumWithinBlocksiPKfPf.num_vgpr, 7
	.set _Z15SumWithinBlocksiPKfPf.num_agpr, 0
	.set _Z15SumWithinBlocksiPKfPf.numbered_sgpr, 13
	.set _Z15SumWithinBlocksiPKfPf.num_named_barrier, 0
	.set _Z15SumWithinBlocksiPKfPf.private_seg_size, 0
	.set _Z15SumWithinBlocksiPKfPf.uses_vcc, 1
	.set _Z15SumWithinBlocksiPKfPf.uses_flat_scratch, 0
	.set _Z15SumWithinBlocksiPKfPf.has_dyn_sized_stack, 0
	.set _Z15SumWithinBlocksiPKfPf.has_recursion, 0
	.set _Z15SumWithinBlocksiPKfPf.has_indirect_call, 0
	.section	.AMDGPU.csdata,"",@progbits
; Kernel info:
; codeLenInByte = 780
; TotalNumSgprs: 17
; NumVgprs: 7
; ScratchSize: 0
; MemoryBound: 0
; FloatMode: 240
; IeeeMode: 1
; LDSByteSize: 2048 bytes/workgroup (compile time only)
; SGPRBlocks: 8
; VGPRBlocks: 7
; NumSGPRsForWavesPerEU: 65
; NumVGPRsForWavesPerEU: 29
; Occupancy: 8
; WaveLimiterHint : 0
; COMPUTE_PGM_RSRC2:SCRATCH_EN: 0
; COMPUTE_PGM_RSRC2:USER_SGPR: 6
; COMPUTE_PGM_RSRC2:TRAP_HANDLER: 0
; COMPUTE_PGM_RSRC2:TGID_X_EN: 1
; COMPUTE_PGM_RSRC2:TGID_Y_EN: 0
; COMPUTE_PGM_RSRC2:TGID_Z_EN: 0
; COMPUTE_PGM_RSRC2:TIDIG_COMP_CNT: 0
	.text
	.protected	_Z7initranjPj           ; -- Begin function _Z7initranjPj
	.globl	_Z7initranjPj
	.p2align	8
	.type	_Z7initranjPj,@function
_Z7initranjPj:                          ; @_Z7initranjPj
; %bb.0:
	s_load_dword s2, s[4:5], 0x1c
	s_load_dword s3, s[4:5], 0x0
	s_load_dwordx2 s[0:1], s[4:5], 0x8
	s_waitcnt lgkmcnt(0)
	s_and_b32 s2, s2, 0xffff
	s_mul_i32 s6, s6, s2
	v_add_u32_e32 v0, s6, v0
	v_xor_b32_e32 v2, s3, v0
	v_mov_b32_e32 v4, s1
	s_mov_b32 s1, 0x1984a2d
	v_ashrrev_i32_e32 v1, 31, v0
	v_mad_u64_u32 v[2:3], s[2:3], v2, s1, 1
	v_lshlrev_b64 v[0:1], 2, v[0:1]
	v_add_co_u32_e32 v0, vcc, s0, v0
	v_addc_co_u32_e32 v1, vcc, v4, v1, vcc
	v_and_b32_e32 v2, 0x7fffffff, v2
	global_store_dword v[0:1], v2, off
	s_endpgm
	.section	.rodata,"a",@progbits
	.p2align	6, 0x0
	.amdhsa_kernel _Z7initranjPj
		.amdhsa_group_segment_fixed_size 0
		.amdhsa_private_segment_fixed_size 0
		.amdhsa_kernarg_size 272
		.amdhsa_user_sgpr_count 6
		.amdhsa_user_sgpr_private_segment_buffer 1
		.amdhsa_user_sgpr_dispatch_ptr 0
		.amdhsa_user_sgpr_queue_ptr 0
		.amdhsa_user_sgpr_kernarg_segment_ptr 1
		.amdhsa_user_sgpr_dispatch_id 0
		.amdhsa_user_sgpr_flat_scratch_init 0
		.amdhsa_user_sgpr_private_segment_size 0
		.amdhsa_uses_dynamic_stack 0
		.amdhsa_system_sgpr_private_segment_wavefront_offset 0
		.amdhsa_system_sgpr_workgroup_id_x 1
		.amdhsa_system_sgpr_workgroup_id_y 0
		.amdhsa_system_sgpr_workgroup_id_z 0
		.amdhsa_system_sgpr_workgroup_info 0
		.amdhsa_system_vgpr_workitem_id 0
		.amdhsa_next_free_vgpr 5
		.amdhsa_next_free_sgpr 7
		.amdhsa_reserve_vcc 1
		.amdhsa_reserve_flat_scratch 0
		.amdhsa_float_round_mode_32 0
		.amdhsa_float_round_mode_16_64 0
		.amdhsa_float_denorm_mode_32 3
		.amdhsa_float_denorm_mode_16_64 3
		.amdhsa_dx10_clamp 1
		.amdhsa_ieee_mode 1
		.amdhsa_fp16_overflow 0
		.amdhsa_exception_fp_ieee_invalid_op 0
		.amdhsa_exception_fp_denorm_src 0
		.amdhsa_exception_fp_ieee_div_zero 0
		.amdhsa_exception_fp_ieee_overflow 0
		.amdhsa_exception_fp_ieee_underflow 0
		.amdhsa_exception_fp_ieee_inexact 0
		.amdhsa_exception_int_div_zero 0
	.end_amdhsa_kernel
	.text
.Lfunc_end1:
	.size	_Z7initranjPj, .Lfunc_end1-_Z7initranjPj
                                        ; -- End function
	.set _Z7initranjPj.num_vgpr, 5
	.set _Z7initranjPj.num_agpr, 0
	.set _Z7initranjPj.numbered_sgpr, 7
	.set _Z7initranjPj.num_named_barrier, 0
	.set _Z7initranjPj.private_seg_size, 0
	.set _Z7initranjPj.uses_vcc, 1
	.set _Z7initranjPj.uses_flat_scratch, 0
	.set _Z7initranjPj.has_dyn_sized_stack, 0
	.set _Z7initranjPj.has_recursion, 0
	.set _Z7initranjPj.has_indirect_call, 0
	.section	.AMDGPU.csdata,"",@progbits
; Kernel info:
; codeLenInByte = 108
; TotalNumSgprs: 11
; NumVgprs: 5
; ScratchSize: 0
; MemoryBound: 0
; FloatMode: 240
; IeeeMode: 1
; LDSByteSize: 0 bytes/workgroup (compile time only)
; SGPRBlocks: 1
; VGPRBlocks: 1
; NumSGPRsForWavesPerEU: 11
; NumVGPRsForWavesPerEU: 5
; Occupancy: 10
; WaveLimiterHint : 0
; COMPUTE_PGM_RSRC2:SCRATCH_EN: 0
; COMPUTE_PGM_RSRC2:USER_SGPR: 6
; COMPUTE_PGM_RSRC2:TRAP_HANDLER: 0
; COMPUTE_PGM_RSRC2:TGID_X_EN: 1
; COMPUTE_PGM_RSRC2:TGID_Y_EN: 0
; COMPUTE_PGM_RSRC2:TGID_Z_EN: 0
; COMPUTE_PGM_RSRC2:TIDIG_COMP_CNT: 0
	.text
	.protected	_Z10zero_statsiPf       ; -- Begin function _Z10zero_statsiPf
	.globl	_Z10zero_statsiPf
	.p2align	8
	.type	_Z10zero_statsiPf,@function
_Z10zero_statsiPf:                      ; @_Z10zero_statsiPf
; %bb.0:
	s_load_dword s0, s[4:5], 0x0
	s_load_dword s7, s[4:5], 0x1c
	s_load_dwordx2 s[2:3], s[4:5], 0x8
	v_mov_b32_e32 v4, 0
	s_waitcnt lgkmcnt(0)
	s_ashr_i32 s1, s0, 31
	s_and_b32 s4, s7, 0xffff
	s_mul_i32 s6, s6, s4
	v_add_u32_e32 v0, s6, v0
	v_ashrrev_i32_e32 v1, 31, v0
	v_lshlrev_b64 v[1:2], 2, v[0:1]
	v_mov_b32_e32 v3, s3
	v_add_co_u32_e32 v1, vcc, s2, v1
	v_addc_co_u32_e32 v2, vcc, v3, v2, vcc
	s_lshl_b64 s[4:5], s[0:1], 2
	global_store_dword v[1:2], v4, off
	v_mov_b32_e32 v5, s5
	v_add_co_u32_e32 v1, vcc, s4, v1
	s_add_i32 s1, s0, s0
	v_addc_co_u32_e32 v2, vcc, v2, v5, vcc
	v_add_u32_e32 v0, s1, v0
	global_store_dword v[1:2], v4, off
	v_ashrrev_i32_e32 v1, 31, v0
	v_lshlrev_b64 v[1:2], 2, v[0:1]
	v_add_u32_e32 v0, s0, v0
	v_add_co_u32_e32 v1, vcc, s2, v1
	v_addc_co_u32_e32 v2, vcc, v3, v2, vcc
	global_store_dword v[1:2], v4, off
	v_ashrrev_i32_e32 v1, 31, v0
	v_lshlrev_b64 v[0:1], 2, v[0:1]
	v_add_co_u32_e32 v0, vcc, s2, v0
	v_addc_co_u32_e32 v1, vcc, v3, v1, vcc
	global_store_dword v[0:1], v4, off
	s_endpgm
	.section	.rodata,"a",@progbits
	.p2align	6, 0x0
	.amdhsa_kernel _Z10zero_statsiPf
		.amdhsa_group_segment_fixed_size 0
		.amdhsa_private_segment_fixed_size 0
		.amdhsa_kernarg_size 272
		.amdhsa_user_sgpr_count 6
		.amdhsa_user_sgpr_private_segment_buffer 1
		.amdhsa_user_sgpr_dispatch_ptr 0
		.amdhsa_user_sgpr_queue_ptr 0
		.amdhsa_user_sgpr_kernarg_segment_ptr 1
		.amdhsa_user_sgpr_dispatch_id 0
		.amdhsa_user_sgpr_flat_scratch_init 0
		.amdhsa_user_sgpr_private_segment_size 0
		.amdhsa_uses_dynamic_stack 0
		.amdhsa_system_sgpr_private_segment_wavefront_offset 0
		.amdhsa_system_sgpr_workgroup_id_x 1
		.amdhsa_system_sgpr_workgroup_id_y 0
		.amdhsa_system_sgpr_workgroup_id_z 0
		.amdhsa_system_sgpr_workgroup_info 0
		.amdhsa_system_vgpr_workitem_id 0
		.amdhsa_next_free_vgpr 6
		.amdhsa_next_free_sgpr 8
		.amdhsa_reserve_vcc 1
		.amdhsa_reserve_flat_scratch 0
		.amdhsa_float_round_mode_32 0
		.amdhsa_float_round_mode_16_64 0
		.amdhsa_float_denorm_mode_32 3
		.amdhsa_float_denorm_mode_16_64 3
		.amdhsa_dx10_clamp 1
		.amdhsa_ieee_mode 1
		.amdhsa_fp16_overflow 0
		.amdhsa_exception_fp_ieee_invalid_op 0
		.amdhsa_exception_fp_denorm_src 0
		.amdhsa_exception_fp_ieee_div_zero 0
		.amdhsa_exception_fp_ieee_overflow 0
		.amdhsa_exception_fp_ieee_underflow 0
		.amdhsa_exception_fp_ieee_inexact 0
		.amdhsa_exception_int_div_zero 0
	.end_amdhsa_kernel
	.text
.Lfunc_end2:
	.size	_Z10zero_statsiPf, .Lfunc_end2-_Z10zero_statsiPf
                                        ; -- End function
	.set _Z10zero_statsiPf.num_vgpr, 6
	.set _Z10zero_statsiPf.num_agpr, 0
	.set _Z10zero_statsiPf.numbered_sgpr, 8
	.set _Z10zero_statsiPf.num_named_barrier, 0
	.set _Z10zero_statsiPf.private_seg_size, 0
	.set _Z10zero_statsiPf.uses_vcc, 1
	.set _Z10zero_statsiPf.uses_flat_scratch, 0
	.set _Z10zero_statsiPf.has_dyn_sized_stack, 0
	.set _Z10zero_statsiPf.has_recursion, 0
	.set _Z10zero_statsiPf.has_indirect_call, 0
	.section	.AMDGPU.csdata,"",@progbits
; Kernel info:
; codeLenInByte = 180
; TotalNumSgprs: 12
; NumVgprs: 6
; ScratchSize: 0
; MemoryBound: 0
; FloatMode: 240
; IeeeMode: 1
; LDSByteSize: 0 bytes/workgroup (compile time only)
; SGPRBlocks: 1
; VGPRBlocks: 1
; NumSGPRsForWavesPerEU: 12
; NumVGPRsForWavesPerEU: 6
; Occupancy: 10
; WaveLimiterHint : 0
; COMPUTE_PGM_RSRC2:SCRATCH_EN: 0
; COMPUTE_PGM_RSRC2:USER_SGPR: 6
; COMPUTE_PGM_RSRC2:TRAP_HANDLER: 0
; COMPUTE_PGM_RSRC2:TGID_X_EN: 1
; COMPUTE_PGM_RSRC2:TGID_Y_EN: 0
; COMPUTE_PGM_RSRC2:TGID_Z_EN: 0
; COMPUTE_PGM_RSRC2:TIDIG_COMP_CNT: 0
	.text
	.protected	_Z10initializePfS_S_S_S_S_S_Pj ; -- Begin function _Z10initializePfS_S_S_S_S_S_Pj
	.globl	_Z10initializePfS_S_S_S_S_S_Pj
	.p2align	8
	.type	_Z10initializePfS_S_S_S_S_S_Pj,@function
_Z10initializePfS_S_S_S_S_S_Pj:         ; @_Z10initializePfS_S_S_S_S_S_Pj
; %bb.0:
	s_load_dword s0, s[4:5], 0x4c
	s_load_dwordx8 s[8:15], s[4:5], 0x20
	s_mov_b32 s7, 0x18e43479
	s_load_dwordx8 s[16:23], s[4:5], 0x0
	s_brev_b32 s2, 12
	s_waitcnt lgkmcnt(0)
	s_and_b32 s0, s0, 0xffff
	s_mul_i32 s6, s6, s0
	v_add_u32_e32 v0, s6, v0
	v_ashrrev_i32_e32 v1, 31, v0
	v_lshlrev_b64 v[0:1], 2, v[0:1]
	v_mov_b32_e32 v3, s15
	v_add_co_u32_e32 v2, vcc, s14, v0
	v_addc_co_u32_e32 v3, vcc, v3, v1, vcc
	global_load_dword v17, v[2:3], off
	s_mov_b32 s0, 0x1984a2d
	s_mov_b32 s3, 0x84ee0be9
	;; [unrolled: 1-line block ×3, first 2 shown]
	v_mov_b32_e32 v5, s17
	v_add_co_u32_e32 v4, vcc, s16, v0
	s_mov_b32 s5, 0x6dc9da11
	s_mov_b32 s6, 0x309c3efd
	v_addc_co_u32_e32 v5, vcc, v5, v1, vcc
	v_mov_b32_e32 v7, s19
	v_add_co_u32_e32 v6, vcc, s18, v0
	v_addc_co_u32_e32 v7, vcc, v7, v1, vcc
	v_mov_b32_e32 v9, s21
	v_add_co_u32_e32 v8, vcc, s20, v0
	;; [unrolled: 3-line block ×4, first 2 shown]
	v_addc_co_u32_e32 v13, vcc, v13, v1, vcc
	v_mov_b32_e32 v16, s11
	s_waitcnt vmcnt(0)
	v_mad_u64_u32 v[14:15], s[0:1], v17, s0, 1
	v_mul_lo_u32 v18, v17, s7
	v_mul_lo_u32 v19, v17, s3
	v_and_b32_e32 v14, 0x7fffffff, v14
	v_cvt_f32_u32_e32 v14, v14
	v_add_u32_e32 v18, 0x4d8de11a, v18
	v_and_b32_e32 v18, 0x7fffffff, v18
	global_store_dword v[2:3], v18, off
	v_fma_f32 v3, v14, s2, -0.5
	v_mul_lo_u32 v2, v17, s4
	v_mul_f32_e32 v14, 4.0, v3
	global_store_dword v[4:5], v14, off
	v_mul_lo_u32 v4, v17, s5
	v_mul_lo_u32 v5, v17, s6
	v_add_u32_e32 v17, 0x1984a2e, v19
	v_add_u32_e32 v2, 0x86865617, v2
	v_and_b32_e32 v17, 0x7fffffff, v17
	v_add_u32_e32 v4, 0xaf27c80c, v4
	v_add_u32_e32 v5, 0x1cf1a21d, v5
	v_and_b32_e32 v2, 0x7fffffff, v2
	v_cvt_f32_u32_e32 v17, v17
	v_and_b32_e32 v4, 0x7fffffff, v4
	v_and_b32_e32 v5, 0x7fffffff, v5
	v_cvt_f32_u32_e32 v2, v2
	v_cvt_f32_u32_e32 v4, v4
	;; [unrolled: 1-line block ×4, first 2 shown]
	v_fma_f32 v17, v17, s2, -0.5
	v_fma_f32 v2, v2, s2, -0.5
	v_mul_f32_e32 v19, 4.0, v17
	v_add_co_u32_e32 v15, vcc, s10, v0
	v_fma_f32 v4, v4, s2, -0.5
	v_fma_f32 v5, v5, s2, -0.5
	;; [unrolled: 1-line block ×3, first 2 shown]
	global_store_dword v[6:7], v19, off
	v_mul_f32_e32 v6, 4.0, v2
	v_addc_co_u32_e32 v16, vcc, v16, v1, vcc
	v_mul_f32_e32 v4, 4.0, v4
	v_mul_f32_e32 v5, 4.0, v5
	;; [unrolled: 1-line block ×3, first 2 shown]
	global_store_dword v[8:9], v6, off
	global_store_dword v[10:11], v4, off
	;; [unrolled: 1-line block ×4, first 2 shown]
	v_mul_f32_e32 v8, v19, v19
	v_fmac_f32_e32 v8, v14, v14
	s_mov_b32 s7, 0xf800000
	v_fmac_f32_e32 v8, v6, v6
	v_mul_f32_e32 v6, 0x4f800000, v8
	v_cmp_gt_f32_e32 vcc, s7, v8
	v_cndmask_b32_e32 v6, v8, v6, vcc
	v_sqrt_f32_e32 v8, v6
	v_mul_f32_e32 v9, v5, v5
	v_fmac_f32_e32 v9, v4, v4
	v_fmac_f32_e32 v9, v7, v7
	v_add_u32_e32 v11, -1, v8
	v_add_u32_e32 v12, 1, v8
	v_fma_f32 v13, -v11, v8, v6
	v_fma_f32 v14, -v12, v8, v6
	v_cmp_ge_f32_e64 s[0:1], 0, v13
	v_cndmask_b32_e64 v8, v8, v11, s[0:1]
	v_cmp_lt_f32_e64 s[0:1], 0, v14
	v_cndmask_b32_e64 v8, v8, v12, s[0:1]
	v_mul_f32_e32 v11, 0x37800000, v8
	v_mul_f32_e32 v10, 0x4f800000, v9
	v_cndmask_b32_e32 v8, v8, v11, vcc
	v_cmp_gt_f32_e32 vcc, s7, v9
	v_cndmask_b32_e32 v9, v9, v10, vcc
	v_sqrt_f32_e32 v10, v9
	v_mov_b32_e32 v11, 0x260
	v_cmp_class_f32_e64 s[0:1], v6, v11
	v_cndmask_b32_e64 v6, v8, v6, s[0:1]
	v_add_u32_e32 v8, -1, v10
	v_fma_f32 v12, -v8, v10, v9
	v_fma_f32 v3, v3, 4.0, -v4
	v_fma_f32 v4, v17, 4.0, -v5
	v_cmp_ge_f32_e64 s[0:1], 0, v12
	v_add_u32_e32 v12, 1, v10
	v_mul_f32_e32 v4, v4, v4
	v_cndmask_b32_e64 v8, v10, v8, s[0:1]
	v_fma_f32 v10, -v12, v10, v9
	v_fma_f32 v2, v2, 4.0, -v7
	v_fmac_f32_e32 v4, v3, v3
	v_cmp_lt_f32_e64 s[0:1], 0, v10
	v_fmac_f32_e32 v4, v2, v2
	v_cndmask_b32_e64 v8, v8, v12, s[0:1]
	v_mul_f32_e32 v2, 0x4f800000, v4
	v_cmp_gt_f32_e64 s[0:1], s7, v4
	v_cndmask_b32_e64 v2, v4, v2, s[0:1]
	v_sqrt_f32_e32 v3, v2
	v_mul_f32_e32 v10, 0x37800000, v8
	v_cndmask_b32_e32 v4, v8, v10, vcc
	v_cmp_class_f32_e32 vcc, v9, v11
	v_add_u32_e32 v5, -1, v3
	v_fma_f32 v7, -v5, v3, v2
	v_cndmask_b32_e32 v4, v4, v9, vcc
	v_cmp_ge_f32_e32 vcc, 0, v7
	v_add_u32_e32 v7, 1, v3
	v_cndmask_b32_e32 v5, v3, v5, vcc
	v_fma_f32 v3, -v7, v3, v2
	v_cmp_lt_f32_e32 vcc, 0, v3
	v_cndmask_b32_e32 v3, v5, v7, vcc
	v_add_f32_e32 v4, v6, v4
	v_mul_f32_e32 v5, 0x37800000, v3
	v_mul_f32_e32 v4, -2.0, v4
	v_cndmask_b32_e64 v3, v3, v5, s[0:1]
	s_mov_b32 s0, 0x3fb8aa3b
	v_mul_f32_e32 v5, 0x3fb8aa3b, v4
	v_fma_f32 v6, v4, s0, -v5
	v_rndne_f32_e32 v7, v5
	v_fmac_f32_e32 v6, 0x32a5705f, v4
	v_sub_f32_e32 v5, v5, v7
	v_add_f32_e32 v5, v5, v6
	v_exp_f32_e32 v5, v5
	v_cvt_i32_f32_e32 v6, v7
	v_cmp_class_f32_e32 vcc, v2, v11
	s_mov_b32 s0, 0xc2ce8ed0
	v_cndmask_b32_e32 v2, v3, v2, vcc
	v_ldexp_f32 v3, v5, v6
	v_cmp_ngt_f32_e32 vcc, s0, v4
	s_mov_b32 s0, 0x42b17218
	v_cndmask_b32_e32 v3, 0, v3, vcc
	v_mov_b32_e32 v5, 0x7f800000
	v_cmp_nlt_f32_e32 vcc, s0, v4
	v_fma_f32 v2, v2, 0.5, 1.0
	v_cndmask_b32_e32 v3, v5, v3, vcc
	v_mul_f32_e32 v2, v2, v3
	v_mov_b32_e32 v3, s13
	v_add_co_u32_e32 v0, vcc, s12, v0
	v_addc_co_u32_e32 v1, vcc, v3, v1, vcc
	global_store_dword v[0:1], v2, off
	s_endpgm
	.section	.rodata,"a",@progbits
	.p2align	6, 0x0
	.amdhsa_kernel _Z10initializePfS_S_S_S_S_S_Pj
		.amdhsa_group_segment_fixed_size 0
		.amdhsa_private_segment_fixed_size 0
		.amdhsa_kernarg_size 320
		.amdhsa_user_sgpr_count 6
		.amdhsa_user_sgpr_private_segment_buffer 1
		.amdhsa_user_sgpr_dispatch_ptr 0
		.amdhsa_user_sgpr_queue_ptr 0
		.amdhsa_user_sgpr_kernarg_segment_ptr 1
		.amdhsa_user_sgpr_dispatch_id 0
		.amdhsa_user_sgpr_flat_scratch_init 0
		.amdhsa_user_sgpr_private_segment_size 0
		.amdhsa_uses_dynamic_stack 0
		.amdhsa_system_sgpr_private_segment_wavefront_offset 0
		.amdhsa_system_sgpr_workgroup_id_x 1
		.amdhsa_system_sgpr_workgroup_id_y 0
		.amdhsa_system_sgpr_workgroup_id_z 0
		.amdhsa_system_sgpr_workgroup_info 0
		.amdhsa_system_vgpr_workitem_id 0
		.amdhsa_next_free_vgpr 20
		.amdhsa_next_free_sgpr 24
		.amdhsa_reserve_vcc 1
		.amdhsa_reserve_flat_scratch 0
		.amdhsa_float_round_mode_32 0
		.amdhsa_float_round_mode_16_64 0
		.amdhsa_float_denorm_mode_32 3
		.amdhsa_float_denorm_mode_16_64 3
		.amdhsa_dx10_clamp 1
		.amdhsa_ieee_mode 1
		.amdhsa_fp16_overflow 0
		.amdhsa_exception_fp_ieee_invalid_op 0
		.amdhsa_exception_fp_denorm_src 0
		.amdhsa_exception_fp_ieee_div_zero 0
		.amdhsa_exception_fp_ieee_overflow 0
		.amdhsa_exception_fp_ieee_underflow 0
		.amdhsa_exception_fp_ieee_inexact 0
		.amdhsa_exception_int_div_zero 0
	.end_amdhsa_kernel
	.text
.Lfunc_end3:
	.size	_Z10initializePfS_S_S_S_S_S_Pj, .Lfunc_end3-_Z10initializePfS_S_S_S_S_S_Pj
                                        ; -- End function
	.set _Z10initializePfS_S_S_S_S_S_Pj.num_vgpr, 20
	.set _Z10initializePfS_S_S_S_S_S_Pj.num_agpr, 0
	.set _Z10initializePfS_S_S_S_S_S_Pj.numbered_sgpr, 24
	.set _Z10initializePfS_S_S_S_S_S_Pj.num_named_barrier, 0
	.set _Z10initializePfS_S_S_S_S_S_Pj.private_seg_size, 0
	.set _Z10initializePfS_S_S_S_S_S_Pj.uses_vcc, 1
	.set _Z10initializePfS_S_S_S_S_S_Pj.uses_flat_scratch, 0
	.set _Z10initializePfS_S_S_S_S_S_Pj.has_dyn_sized_stack, 0
	.set _Z10initializePfS_S_S_S_S_S_Pj.has_recursion, 0
	.set _Z10initializePfS_S_S_S_S_S_Pj.has_indirect_call, 0
	.section	.AMDGPU.csdata,"",@progbits
; Kernel info:
; codeLenInByte = 1004
; TotalNumSgprs: 28
; NumVgprs: 20
; ScratchSize: 0
; MemoryBound: 0
; FloatMode: 240
; IeeeMode: 1
; LDSByteSize: 0 bytes/workgroup (compile time only)
; SGPRBlocks: 3
; VGPRBlocks: 4
; NumSGPRsForWavesPerEU: 28
; NumVGPRsForWavesPerEU: 20
; Occupancy: 10
; WaveLimiterHint : 0
; COMPUTE_PGM_RSRC2:SCRATCH_EN: 0
; COMPUTE_PGM_RSRC2:USER_SGPR: 6
; COMPUTE_PGM_RSRC2:TRAP_HANDLER: 0
; COMPUTE_PGM_RSRC2:TGID_X_EN: 1
; COMPUTE_PGM_RSRC2:TGID_Y_EN: 0
; COMPUTE_PGM_RSRC2:TGID_Z_EN: 0
; COMPUTE_PGM_RSRC2:TIDIG_COMP_CNT: 0
	.text
	.protected	_Z9propagateiiPfS_S_S_S_S_S_S_Pj ; -- Begin function _Z9propagateiiPfS_S_S_S_S_S_S_Pj
	.globl	_Z9propagateiiPfS_S_S_S_S_S_S_Pj
	.p2align	8
	.type	_Z9propagateiiPfS_S_S_S_S_S_S_Pj,@function
_Z9propagateiiPfS_S_S_S_S_S_S_Pj:       ; @_Z9propagateiiPfS_S_S_S_S_S_S_Pj
; %bb.0:
	s_load_dword s0, s[4:5], 0x5c
	s_load_dwordx8 s[8:15], s[4:5], 0x0
	s_load_dwordx8 s[16:23], s[4:5], 0x20
	s_waitcnt lgkmcnt(0)
	s_and_b32 s0, s0, 0xffff
	s_mul_i32 s6, s6, s0
	v_add_u32_e32 v22, s6, v0
	v_ashrrev_i32_e32 v23, 31, v22
	v_lshlrev_b64 v[18:19], 2, v[22:23]
	v_mov_b32_e32 v1, s11
	v_add_co_u32_e32 v0, vcc, s10, v18
	v_addc_co_u32_e32 v1, vcc, v1, v19, vcc
	v_mov_b32_e32 v3, s13
	v_add_co_u32_e32 v2, vcc, s12, v18
	v_addc_co_u32_e32 v3, vcc, v3, v19, vcc
	;; [unrolled: 3-line block ×6, first 2 shown]
	v_mov_b32_e32 v13, s23
	v_add_co_u32_e32 v12, vcc, s22, v18
	global_load_dword v24, v[0:1], off
	v_addc_co_u32_e32 v13, vcc, v13, v19, vcc
	global_load_dword v27, v[2:3], off
	global_load_dword v30, v[4:5], off
	;; [unrolled: 1-line block ×6, first 2 shown]
	s_cmp_lt_i32 s9, 1
	s_cbranch_scc1 .LBB4_8
; %bb.1:
	s_load_dwordx4 s[0:3], s[4:5], 0x40
	s_mov_b32 s4, 0x1984a2d
	s_brev_b32 s5, 12
	s_mov_b32 s6, 0x84ee0be9
	s_mov_b32 s7, 0x28a171f5
	s_waitcnt lgkmcnt(0)
	v_mov_b32_e32 v15, s3
	v_add_co_u32_e32 v14, vcc, s2, v18
	v_addc_co_u32_e32 v15, vcc, v15, v19, vcc
	global_load_dword v31, v[14:15], off
	v_mad_u64_u32 v[16:17], s[2:3], s8, 3, v[22:23]
	v_mov_b32_e32 v20, s1
	s_ashr_i32 s3, s8, 31
	v_ashrrev_i32_e32 v17, 31, v16
	v_lshlrev_b64 v[16:17], 2, v[16:17]
	s_mov_b32 s2, s8
	v_add_co_u32_e32 v16, vcc, s0, v16
	v_addc_co_u32_e32 v17, vcc, v20, v17, vcc
	v_add_co_u32_e32 v18, vcc, s0, v18
	v_addc_co_u32_e32 v19, vcc, v20, v19, vcc
	s_lshl_b64 s[2:3], s[2:3], 2
	v_add_co_u32_e32 v20, vcc, s2, v18
	s_add_i32 s2, s8, s8
	v_add_u32_e32 v22, s2, v22
	v_ashrrev_i32_e32 v23, 31, v22
	v_mov_b32_e32 v21, s3
	v_lshlrev_b64 v[22:23], 2, v[22:23]
	v_addc_co_u32_e32 v21, vcc, v19, v21, vcc
	v_mov_b32_e32 v32, s1
	v_add_co_u32_e32 v22, vcc, s0, v22
	v_addc_co_u32_e32 v23, vcc, v32, v23, vcc
	s_mov_b32 s8, 0x6dc9da11
	s_mov_b32 s10, 0x309c3efd
	;; [unrolled: 1-line block ×4, first 2 shown]
	v_mov_b32_e32 v32, 0x260
	s_mov_b32 s13, 0x3fb8aa3b
	s_mov_b32 s14, 0xc2ce8ed0
	;; [unrolled: 1-line block ×4, first 2 shown]
	s_branch .LBB4_3
.LBB4_2:                                ;   in Loop: Header=BB4_3 Depth=1
	s_or_b64 exec, exec, s[0:1]
	global_load_dword v33, v[18:19], off
	s_add_i32 s9, s9, -1
	s_cmp_eq_u32 s9, 0
	s_waitcnt vmcnt(0)
	v_add_f32_e32 v33, v33, v35
	global_store_dword v[18:19], v33, off
	global_load_dword v33, v[20:21], off
	s_waitcnt vmcnt(0)
	v_add_f32_e32 v33, v40, v33
	global_store_dword v[20:21], v33, off
	global_load_dword v33, v[22:23], off
	s_waitcnt vmcnt(0)
	v_add_f32_e32 v33, v33, v41
	global_store_dword v[22:23], v33, off
	s_cbranch_scc1 .LBB4_7
.LBB4_3:                                ; =>This Inner Loop Header: Depth=1
	s_waitcnt vmcnt(0)
	v_mul_lo_u32 v35, v31, s7
	v_mad_u64_u32 v[33:34], s[0:1], v31, s4, 1
	v_mul_lo_u32 v34, v31, s6
	v_add_u32_e32 v35, 0x86865617, v35
	v_and_b32_e32 v35, 0x7fffffff, v35
	v_cvt_f32_u32_e32 v35, v35
	v_add_u32_e32 v34, 0x1984a2e, v34
	v_and_b32_e32 v34, 0x7fffffff, v34
	v_and_b32_e32 v33, 0x7fffffff, v33
	v_cvt_f32_u32_e32 v34, v34
	v_mul_lo_u32 v38, v31, s11
	v_cvt_f32_u32_e32 v33, v33
	v_fma_f32 v35, v35, s5, -0.5
	v_fma_f32 v36, 2.0, v35, v30
	v_mul_lo_u32 v35, v31, s10
	v_fma_f32 v34, v34, s5, -0.5
	v_add_u32_e32 v38, 0x4d8de11a, v38
	v_fma_f32 v33, v33, s5, -0.5
	v_fma_f32 v34, 2.0, v34, v27
	v_and_b32_e32 v38, 0x7fffffff, v38
	v_fma_f32 v33, 2.0, v33, v24
	v_cvt_f32_u32_e32 v39, v38
	v_mul_f32_e32 v38, v34, v34
	v_add_u32_e32 v35, 0x1cf1a21d, v35
	v_fmac_f32_e32 v38, v33, v33
	v_and_b32_e32 v35, 0x7fffffff, v35
	v_fmac_f32_e32 v38, v36, v36
	v_mul_lo_u32 v37, v31, s8
	v_cvt_f32_u32_e32 v35, v35
	v_mul_f32_e32 v40, 0x4f800000, v38
	v_cmp_gt_f32_e32 vcc, s12, v38
	v_cndmask_b32_e32 v40, v38, v40, vcc
	v_sqrt_f32_e32 v41, v40
	v_add_u32_e32 v37, 0xaf27c80c, v37
	v_fma_f32 v35, v35, s5, -0.5
	v_and_b32_e32 v37, 0x7fffffff, v37
	v_fma_f32 v38, 2.0, v35, v28
	v_fma_f32 v35, v39, s5, -0.5
	v_cvt_f32_u32_e32 v37, v37
	v_fma_f32 v39, 2.0, v35, v26
	v_add_u32_e32 v35, -1, v41
	v_fma_f32 v42, -v35, v41, v40
	v_cmp_ge_f32_e64 s[0:1], 0, v42
	v_add_u32_e32 v42, 1, v41
	v_cndmask_b32_e64 v35, v41, v35, s[0:1]
	v_fma_f32 v41, -v42, v41, v40
	v_fma_f32 v37, v37, s5, -0.5
	v_cmp_lt_f32_e64 s[0:1], 0, v41
	v_fma_f32 v37, 2.0, v37, v29
	v_cndmask_b32_e64 v35, v35, v42, s[0:1]
	v_mul_f32_e32 v42, v38, v38
	v_fmac_f32_e32 v42, v37, v37
	v_fmac_f32_e32 v42, v39, v39
	v_mul_f32_e32 v43, 0x4f800000, v42
	v_cmp_gt_f32_e64 s[0:1], s12, v42
	v_cndmask_b32_e64 v42, v42, v43, s[0:1]
	v_sqrt_f32_e32 v43, v42
	v_mul_f32_e32 v41, 0x37800000, v35
	v_cndmask_b32_e32 v35, v35, v41, vcc
	v_cmp_class_f32_e32 vcc, v40, v32
	v_cndmask_b32_e32 v35, v35, v40, vcc
	v_add_u32_e32 v40, -1, v43
	v_fma_f32 v41, -v40, v43, v42
	v_cmp_ge_f32_e32 vcc, 0, v41
	v_add_u32_e32 v41, 1, v43
	v_cndmask_b32_e32 v40, v43, v40, vcc
	v_fma_f32 v43, -v41, v43, v42
	v_sub_f32_e32 v44, v34, v38
	v_cmp_lt_f32_e32 vcc, 0, v43
	v_sub_f32_e32 v43, v33, v37
	v_mul_f32_e32 v44, v44, v44
	v_sub_f32_e32 v45, v36, v39
	v_fmac_f32_e32 v44, v43, v43
	v_fmac_f32_e32 v44, v45, v45
	v_cndmask_b32_e32 v40, v40, v41, vcc
	v_mul_f32_e32 v43, 0x4f800000, v44
	v_cmp_gt_f32_e32 vcc, s12, v44
	v_cndmask_b32_e32 v43, v44, v43, vcc
	v_sqrt_f32_e32 v44, v43
	v_mul_f32_e32 v41, 0x37800000, v40
	v_cndmask_b32_e64 v40, v40, v41, s[0:1]
	v_cmp_class_f32_e64 s[0:1], v42, v32
	v_add_u32_e32 v41, -1, v44
	v_cndmask_b32_e64 v40, v40, v42, s[0:1]
	v_fma_f32 v42, -v41, v44, v43
	v_cmp_ge_f32_e64 s[0:1], 0, v42
	v_add_u32_e32 v42, 1, v44
	v_cndmask_b32_e64 v41, v44, v41, s[0:1]
	v_fma_f32 v44, -v42, v44, v43
	v_cmp_lt_f32_e64 s[0:1], 0, v44
	v_cndmask_b32_e64 v41, v41, v42, s[0:1]
	v_mul_f32_e32 v42, 0x37800000, v41
	v_cndmask_b32_e32 v41, v41, v42, vcc
	v_add_f32_e32 v42, v35, v40
	v_mul_f32_e32 v42, -2.0, v42
	v_mul_f32_e32 v44, 0x3fb8aa3b, v42
	v_fma_f32 v45, v42, s13, -v44
	v_rndne_f32_e32 v46, v44
	v_fmac_f32_e32 v45, 0x32a5705f, v42
	v_sub_f32_e32 v44, v44, v46
	v_add_f32_e32 v44, v44, v45
	v_exp_f32_e32 v44, v44
	v_cvt_i32_f32_e32 v45, v46
	v_mul_lo_u32 v31, v31, s16
	v_cmp_class_f32_e32 vcc, v43, v32
	v_cndmask_b32_e32 v41, v41, v43, vcc
	v_ldexp_f32 v44, v44, v45
	v_cmp_ngt_f32_e32 vcc, s14, v42
	v_add_u32_e32 v31, 0x66721593, v31
	v_cndmask_b32_e32 v44, 0, v44, vcc
	v_mov_b32_e32 v45, 0x7f800000
	v_cmp_nlt_f32_e32 vcc, s15, v42
	v_and_b32_e32 v31, 0x7fffffff, v31
	v_cndmask_b32_e32 v42, v45, v44, vcc
	v_cvt_f32_u32_e32 v44, v31
	v_fma_f32 v43, v41, 0.5, 1.0
	v_mul_f32_e32 v42, v43, v42
	v_mul_f32_e32 v45, v25, v25
	;; [unrolled: 1-line block ×5, first 2 shown]
	v_cmp_ngt_f32_e32 vcc, v43, v44
	s_and_saveexec_b64 s[0:1], vcc
	s_xor_b64 s[2:3], exec, s[0:1]
	s_cbranch_execz .LBB4_5
; %bb.4:                                ;   in Loop: Header=BB4_3 Depth=1
	v_mul_f32_e32 v33, v24, v24
	v_fmac_f32_e32 v33, v27, v27
	v_fmac_f32_e32 v33, v30, v30
	v_mul_f32_e32 v34, 0x4f800000, v33
	v_cmp_gt_f32_e32 vcc, s12, v33
	v_cndmask_b32_e32 v33, v33, v34, vcc
	v_sqrt_f32_e32 v34, v33
	v_sub_f32_e32 v38, v27, v28
	v_sub_f32_e32 v39, v30, v26
                                        ; implicit-def: $vgpr42
	v_add_u32_e32 v35, -1, v34
	v_fma_f32 v37, -v35, v34, v33
	v_add_u32_e32 v36, 1, v34
	v_cmp_ge_f32_e64 s[0:1], 0, v37
	v_cndmask_b32_e64 v35, v34, v35, s[0:1]
	v_fma_f32 v34, -v36, v34, v33
	v_cmp_lt_f32_e64 s[0:1], 0, v34
	v_cndmask_b32_e64 v34, v35, v36, s[0:1]
	v_mul_f32_e32 v36, v29, v29
	v_fmac_f32_e32 v36, v28, v28
	v_fmac_f32_e32 v36, v26, v26
	v_mul_f32_e32 v37, 0x4f800000, v36
	v_cmp_gt_f32_e64 s[0:1], s12, v36
	v_cndmask_b32_e64 v36, v36, v37, s[0:1]
	v_sqrt_f32_e32 v37, v36
	v_mul_f32_e32 v35, 0x37800000, v34
	v_cndmask_b32_e32 v34, v34, v35, vcc
	v_cmp_class_f32_e32 vcc, v33, v32
	v_cndmask_b32_e32 v35, v34, v33, vcc
	v_add_u32_e32 v33, -1, v37
	v_fma_f32 v34, -v33, v37, v36
	v_cmp_ge_f32_e32 vcc, 0, v34
	v_add_u32_e32 v34, 1, v37
	v_cndmask_b32_e32 v33, v37, v33, vcc
	v_fma_f32 v37, -v34, v37, v36
	v_cmp_lt_f32_e32 vcc, 0, v37
	v_sub_f32_e32 v37, v24, v29
	v_mul_f32_e32 v37, v37, v37
	v_fmac_f32_e32 v37, v38, v38
	v_fmac_f32_e32 v37, v39, v39
	v_cndmask_b32_e32 v33, v33, v34, vcc
	v_mul_f32_e32 v38, 0x4f800000, v37
	v_cmp_gt_f32_e32 vcc, s12, v37
	v_cndmask_b32_e32 v37, v37, v38, vcc
	v_sqrt_f32_e32 v38, v37
	v_mul_f32_e32 v34, 0x37800000, v33
	v_cndmask_b32_e64 v33, v33, v34, s[0:1]
	v_cmp_class_f32_e64 s[0:1], v36, v32
	v_cndmask_b32_e64 v40, v33, v36, s[0:1]
	v_add_u32_e32 v33, -1, v38
	v_fma_f32 v34, -v33, v38, v37
	v_cmp_ge_f32_e64 s[0:1], 0, v34
	v_add_u32_e32 v34, 1, v38
	v_fma_f32 v36, -v34, v38, v37
	v_cndmask_b32_e64 v33, v38, v33, s[0:1]
	v_cmp_lt_f32_e64 s[0:1], 0, v36
	v_cndmask_b32_e64 v33, v33, v34, s[0:1]
	v_mul_f32_e32 v34, 0x37800000, v33
	v_cndmask_b32_e32 v33, v33, v34, vcc
	v_cmp_class_f32_e32 vcc, v37, v32
	v_cndmask_b32_e32 v41, v33, v37, vcc
                                        ; implicit-def: $vgpr33
                                        ; implicit-def: $vgpr34
                                        ; implicit-def: $vgpr36
                                        ; implicit-def: $vgpr37
                                        ; implicit-def: $vgpr38
                                        ; implicit-def: $vgpr39
.LBB4_5:                                ;   in Loop: Header=BB4_3 Depth=1
	s_andn2_saveexec_b64 s[0:1], s[2:3]
	s_cbranch_execz .LBB4_2
; %bb.6:                                ;   in Loop: Header=BB4_3 Depth=1
	global_load_dword v24, v[16:17], off
	v_mov_b32_e32 v25, v42
	v_mov_b32_e32 v26, v39
	;; [unrolled: 1-line block ×6, first 2 shown]
	s_waitcnt vmcnt(0)
	v_add_f32_e32 v24, 1.0, v24
	global_store_dword v[16:17], v24, off
	v_mov_b32_e32 v24, v33
	s_branch .LBB4_2
.LBB4_7:
	global_store_dword v[14:15], v31, off
.LBB4_8:
	s_waitcnt vmcnt(6)
	global_store_dword v[0:1], v24, off
	s_waitcnt vmcnt(6)
	global_store_dword v[2:3], v27, off
	;; [unrolled: 2-line block ×7, first 2 shown]
	s_endpgm
	.section	.rodata,"a",@progbits
	.p2align	6, 0x0
	.amdhsa_kernel _Z9propagateiiPfS_S_S_S_S_S_S_Pj
		.amdhsa_group_segment_fixed_size 0
		.amdhsa_private_segment_fixed_size 0
		.amdhsa_kernarg_size 336
		.amdhsa_user_sgpr_count 6
		.amdhsa_user_sgpr_private_segment_buffer 1
		.amdhsa_user_sgpr_dispatch_ptr 0
		.amdhsa_user_sgpr_queue_ptr 0
		.amdhsa_user_sgpr_kernarg_segment_ptr 1
		.amdhsa_user_sgpr_dispatch_id 0
		.amdhsa_user_sgpr_flat_scratch_init 0
		.amdhsa_user_sgpr_private_segment_size 0
		.amdhsa_uses_dynamic_stack 0
		.amdhsa_system_sgpr_private_segment_wavefront_offset 0
		.amdhsa_system_sgpr_workgroup_id_x 1
		.amdhsa_system_sgpr_workgroup_id_y 0
		.amdhsa_system_sgpr_workgroup_id_z 0
		.amdhsa_system_sgpr_workgroup_info 0
		.amdhsa_system_vgpr_workitem_id 0
		.amdhsa_next_free_vgpr 47
		.amdhsa_next_free_sgpr 24
		.amdhsa_reserve_vcc 1
		.amdhsa_reserve_flat_scratch 0
		.amdhsa_float_round_mode_32 0
		.amdhsa_float_round_mode_16_64 0
		.amdhsa_float_denorm_mode_32 3
		.amdhsa_float_denorm_mode_16_64 3
		.amdhsa_dx10_clamp 1
		.amdhsa_ieee_mode 1
		.amdhsa_fp16_overflow 0
		.amdhsa_exception_fp_ieee_invalid_op 0
		.amdhsa_exception_fp_denorm_src 0
		.amdhsa_exception_fp_ieee_div_zero 0
		.amdhsa_exception_fp_ieee_overflow 0
		.amdhsa_exception_fp_ieee_underflow 0
		.amdhsa_exception_fp_ieee_inexact 0
		.amdhsa_exception_int_div_zero 0
	.end_amdhsa_kernel
	.text
.Lfunc_end4:
	.size	_Z9propagateiiPfS_S_S_S_S_S_S_Pj, .Lfunc_end4-_Z9propagateiiPfS_S_S_S_S_S_S_Pj
                                        ; -- End function
	.set _Z9propagateiiPfS_S_S_S_S_S_S_Pj.num_vgpr, 47
	.set _Z9propagateiiPfS_S_S_S_S_S_S_Pj.num_agpr, 0
	.set _Z9propagateiiPfS_S_S_S_S_S_S_Pj.numbered_sgpr, 24
	.set _Z9propagateiiPfS_S_S_S_S_S_S_Pj.num_named_barrier, 0
	.set _Z9propagateiiPfS_S_S_S_S_S_S_Pj.private_seg_size, 0
	.set _Z9propagateiiPfS_S_S_S_S_S_S_Pj.uses_vcc, 1
	.set _Z9propagateiiPfS_S_S_S_S_S_S_Pj.uses_flat_scratch, 0
	.set _Z9propagateiiPfS_S_S_S_S_S_S_Pj.has_dyn_sized_stack, 0
	.set _Z9propagateiiPfS_S_S_S_S_S_S_Pj.has_recursion, 0
	.set _Z9propagateiiPfS_S_S_S_S_S_S_Pj.has_indirect_call, 0
	.section	.AMDGPU.csdata,"",@progbits
; Kernel info:
; codeLenInByte = 1784
; TotalNumSgprs: 28
; NumVgprs: 47
; ScratchSize: 0
; MemoryBound: 0
; FloatMode: 240
; IeeeMode: 1
; LDSByteSize: 0 bytes/workgroup (compile time only)
; SGPRBlocks: 3
; VGPRBlocks: 11
; NumSGPRsForWavesPerEU: 28
; NumVGPRsForWavesPerEU: 47
; Occupancy: 5
; WaveLimiterHint : 0
; COMPUTE_PGM_RSRC2:SCRATCH_EN: 0
; COMPUTE_PGM_RSRC2:USER_SGPR: 6
; COMPUTE_PGM_RSRC2:TRAP_HANDLER: 0
; COMPUTE_PGM_RSRC2:TGID_X_EN: 1
; COMPUTE_PGM_RSRC2:TGID_Y_EN: 0
; COMPUTE_PGM_RSRC2:TGID_Z_EN: 0
; COMPUTE_PGM_RSRC2:TIDIG_COMP_CNT: 0
	.section	.AMDGPU.gpr_maximums,"",@progbits
	.set amdgpu.max_num_vgpr, 0
	.set amdgpu.max_num_agpr, 0
	.set amdgpu.max_num_sgpr, 0
	.section	.AMDGPU.csdata,"",@progbits
	.type	__hip_cuid_88c02aaf00770586,@object ; @__hip_cuid_88c02aaf00770586
	.section	.bss,"aw",@nobits
	.globl	__hip_cuid_88c02aaf00770586
__hip_cuid_88c02aaf00770586:
	.byte	0                               ; 0x0
	.size	__hip_cuid_88c02aaf00770586, 1

	.ident	"AMD clang version 22.0.0git (https://github.com/RadeonOpenCompute/llvm-project roc-7.2.4 26084 f58b06dce1f9c15707c5f808fd002e18c2accf7e)"
	.section	".note.GNU-stack","",@progbits
	.addrsig
	.addrsig_sym __hip_cuid_88c02aaf00770586
	.amdgpu_metadata
---
amdhsa.kernels:
  - .args:
      - .offset:         0
        .size:           4
        .value_kind:     by_value
      - .address_space:  global
        .offset:         8
        .size:           8
        .value_kind:     global_buffer
      - .address_space:  global
        .offset:         16
        .size:           8
        .value_kind:     global_buffer
      - .offset:         24
        .size:           4
        .value_kind:     hidden_block_count_x
      - .offset:         28
        .size:           4
        .value_kind:     hidden_block_count_y
      - .offset:         32
        .size:           4
        .value_kind:     hidden_block_count_z
      - .offset:         36
        .size:           2
        .value_kind:     hidden_group_size_x
      - .offset:         38
        .size:           2
        .value_kind:     hidden_group_size_y
      - .offset:         40
        .size:           2
        .value_kind:     hidden_group_size_z
      - .offset:         42
        .size:           2
        .value_kind:     hidden_remainder_x
      - .offset:         44
        .size:           2
        .value_kind:     hidden_remainder_y
      - .offset:         46
        .size:           2
        .value_kind:     hidden_remainder_z
      - .offset:         64
        .size:           8
        .value_kind:     hidden_global_offset_x
      - .offset:         72
        .size:           8
        .value_kind:     hidden_global_offset_y
      - .offset:         80
        .size:           8
        .value_kind:     hidden_global_offset_z
      - .offset:         88
        .size:           2
        .value_kind:     hidden_grid_dims
    .group_segment_fixed_size: 2048
    .kernarg_segment_align: 8
    .kernarg_segment_size: 280
    .language:       OpenCL C
    .language_version:
      - 2
      - 0
    .max_flat_workgroup_size: 1024
    .name:           _Z15SumWithinBlocksiPKfPf
    .private_segment_fixed_size: 0
    .sgpr_count:     17
    .sgpr_spill_count: 0
    .symbol:         _Z15SumWithinBlocksiPKfPf.kd
    .uniform_work_group_size: 1
    .uses_dynamic_stack: false
    .vgpr_count:     7
    .vgpr_spill_count: 0
    .wavefront_size: 64
  - .args:
      - .offset:         0
        .size:           4
        .value_kind:     by_value
      - .address_space:  global
        .offset:         8
        .size:           8
        .value_kind:     global_buffer
      - .offset:         16
        .size:           4
        .value_kind:     hidden_block_count_x
      - .offset:         20
        .size:           4
        .value_kind:     hidden_block_count_y
      - .offset:         24
        .size:           4
        .value_kind:     hidden_block_count_z
      - .offset:         28
        .size:           2
        .value_kind:     hidden_group_size_x
      - .offset:         30
        .size:           2
        .value_kind:     hidden_group_size_y
      - .offset:         32
        .size:           2
        .value_kind:     hidden_group_size_z
      - .offset:         34
        .size:           2
        .value_kind:     hidden_remainder_x
      - .offset:         36
        .size:           2
        .value_kind:     hidden_remainder_y
      - .offset:         38
        .size:           2
        .value_kind:     hidden_remainder_z
      - .offset:         56
        .size:           8
        .value_kind:     hidden_global_offset_x
      - .offset:         64
        .size:           8
        .value_kind:     hidden_global_offset_y
      - .offset:         72
        .size:           8
        .value_kind:     hidden_global_offset_z
      - .offset:         80
        .size:           2
        .value_kind:     hidden_grid_dims
    .group_segment_fixed_size: 0
    .kernarg_segment_align: 8
    .kernarg_segment_size: 272
    .language:       OpenCL C
    .language_version:
      - 2
      - 0
    .max_flat_workgroup_size: 1024
    .name:           _Z7initranjPj
    .private_segment_fixed_size: 0
    .sgpr_count:     11
    .sgpr_spill_count: 0
    .symbol:         _Z7initranjPj.kd
    .uniform_work_group_size: 1
    .uses_dynamic_stack: false
    .vgpr_count:     5
    .vgpr_spill_count: 0
    .wavefront_size: 64
  - .args:
      - .offset:         0
        .size:           4
        .value_kind:     by_value
      - .address_space:  global
        .offset:         8
        .size:           8
        .value_kind:     global_buffer
      - .offset:         16
        .size:           4
        .value_kind:     hidden_block_count_x
      - .offset:         20
        .size:           4
        .value_kind:     hidden_block_count_y
      - .offset:         24
        .size:           4
        .value_kind:     hidden_block_count_z
      - .offset:         28
        .size:           2
        .value_kind:     hidden_group_size_x
      - .offset:         30
        .size:           2
        .value_kind:     hidden_group_size_y
      - .offset:         32
        .size:           2
        .value_kind:     hidden_group_size_z
      - .offset:         34
        .size:           2
        .value_kind:     hidden_remainder_x
      - .offset:         36
        .size:           2
        .value_kind:     hidden_remainder_y
      - .offset:         38
        .size:           2
        .value_kind:     hidden_remainder_z
      - .offset:         56
        .size:           8
        .value_kind:     hidden_global_offset_x
      - .offset:         64
        .size:           8
        .value_kind:     hidden_global_offset_y
      - .offset:         72
        .size:           8
        .value_kind:     hidden_global_offset_z
      - .offset:         80
        .size:           2
        .value_kind:     hidden_grid_dims
    .group_segment_fixed_size: 0
    .kernarg_segment_align: 8
    .kernarg_segment_size: 272
    .language:       OpenCL C
    .language_version:
      - 2
      - 0
    .max_flat_workgroup_size: 1024
    .name:           _Z10zero_statsiPf
    .private_segment_fixed_size: 0
    .sgpr_count:     12
    .sgpr_spill_count: 0
    .symbol:         _Z10zero_statsiPf.kd
    .uniform_work_group_size: 1
    .uses_dynamic_stack: false
    .vgpr_count:     6
    .vgpr_spill_count: 0
    .wavefront_size: 64
  - .args:
      - .actual_access:  write_only
        .address_space:  global
        .offset:         0
        .size:           8
        .value_kind:     global_buffer
      - .actual_access:  write_only
        .address_space:  global
        .offset:         8
        .size:           8
        .value_kind:     global_buffer
      - .actual_access:  write_only
        .address_space:  global
        .offset:         16
        .size:           8
        .value_kind:     global_buffer
      - .actual_access:  write_only
        .address_space:  global
        .offset:         24
        .size:           8
        .value_kind:     global_buffer
      - .actual_access:  write_only
        .address_space:  global
        .offset:         32
        .size:           8
        .value_kind:     global_buffer
      - .actual_access:  write_only
        .address_space:  global
        .offset:         40
        .size:           8
        .value_kind:     global_buffer
      - .actual_access:  write_only
        .address_space:  global
        .offset:         48
        .size:           8
        .value_kind:     global_buffer
      - .address_space:  global
        .offset:         56
        .size:           8
        .value_kind:     global_buffer
      - .offset:         64
        .size:           4
        .value_kind:     hidden_block_count_x
      - .offset:         68
        .size:           4
        .value_kind:     hidden_block_count_y
      - .offset:         72
        .size:           4
        .value_kind:     hidden_block_count_z
      - .offset:         76
        .size:           2
        .value_kind:     hidden_group_size_x
      - .offset:         78
        .size:           2
        .value_kind:     hidden_group_size_y
      - .offset:         80
        .size:           2
        .value_kind:     hidden_group_size_z
      - .offset:         82
        .size:           2
        .value_kind:     hidden_remainder_x
      - .offset:         84
        .size:           2
        .value_kind:     hidden_remainder_y
      - .offset:         86
        .size:           2
        .value_kind:     hidden_remainder_z
      - .offset:         104
        .size:           8
        .value_kind:     hidden_global_offset_x
      - .offset:         112
        .size:           8
        .value_kind:     hidden_global_offset_y
      - .offset:         120
        .size:           8
        .value_kind:     hidden_global_offset_z
      - .offset:         128
        .size:           2
        .value_kind:     hidden_grid_dims
    .group_segment_fixed_size: 0
    .kernarg_segment_align: 8
    .kernarg_segment_size: 320
    .language:       OpenCL C
    .language_version:
      - 2
      - 0
    .max_flat_workgroup_size: 1024
    .name:           _Z10initializePfS_S_S_S_S_S_Pj
    .private_segment_fixed_size: 0
    .sgpr_count:     28
    .sgpr_spill_count: 0
    .symbol:         _Z10initializePfS_S_S_S_S_S_Pj.kd
    .uniform_work_group_size: 1
    .uses_dynamic_stack: false
    .vgpr_count:     20
    .vgpr_spill_count: 0
    .wavefront_size: 64
  - .args:
      - .offset:         0
        .size:           4
        .value_kind:     by_value
      - .offset:         4
        .size:           4
        .value_kind:     by_value
      - .address_space:  global
        .offset:         8
        .size:           8
        .value_kind:     global_buffer
      - .address_space:  global
        .offset:         16
        .size:           8
        .value_kind:     global_buffer
      - .address_space:  global
        .offset:         24
        .size:           8
        .value_kind:     global_buffer
      - .address_space:  global
        .offset:         32
        .size:           8
        .value_kind:     global_buffer
      - .address_space:  global
        .offset:         40
        .size:           8
        .value_kind:     global_buffer
      - .address_space:  global
        .offset:         48
        .size:           8
        .value_kind:     global_buffer
      - .address_space:  global
        .offset:         56
        .size:           8
        .value_kind:     global_buffer
      - .address_space:  global
        .offset:         64
        .size:           8
        .value_kind:     global_buffer
      - .address_space:  global
        .offset:         72
        .size:           8
        .value_kind:     global_buffer
      - .offset:         80
        .size:           4
        .value_kind:     hidden_block_count_x
      - .offset:         84
        .size:           4
        .value_kind:     hidden_block_count_y
      - .offset:         88
        .size:           4
        .value_kind:     hidden_block_count_z
      - .offset:         92
        .size:           2
        .value_kind:     hidden_group_size_x
      - .offset:         94
        .size:           2
        .value_kind:     hidden_group_size_y
      - .offset:         96
        .size:           2
        .value_kind:     hidden_group_size_z
      - .offset:         98
        .size:           2
        .value_kind:     hidden_remainder_x
      - .offset:         100
        .size:           2
        .value_kind:     hidden_remainder_y
      - .offset:         102
        .size:           2
        .value_kind:     hidden_remainder_z
      - .offset:         120
        .size:           8
        .value_kind:     hidden_global_offset_x
      - .offset:         128
        .size:           8
        .value_kind:     hidden_global_offset_y
      - .offset:         136
        .size:           8
        .value_kind:     hidden_global_offset_z
      - .offset:         144
        .size:           2
        .value_kind:     hidden_grid_dims
    .group_segment_fixed_size: 0
    .kernarg_segment_align: 8
    .kernarg_segment_size: 336
    .language:       OpenCL C
    .language_version:
      - 2
      - 0
    .max_flat_workgroup_size: 1024
    .name:           _Z9propagateiiPfS_S_S_S_S_S_S_Pj
    .private_segment_fixed_size: 0
    .sgpr_count:     28
    .sgpr_spill_count: 0
    .symbol:         _Z9propagateiiPfS_S_S_S_S_S_S_Pj.kd
    .uniform_work_group_size: 1
    .uses_dynamic_stack: false
    .vgpr_count:     47
    .vgpr_spill_count: 0
    .wavefront_size: 64
amdhsa.target:   amdgcn-amd-amdhsa--gfx906
amdhsa.version:
  - 1
  - 2
...

	.end_amdgpu_metadata
